;; amdgpu-corpus repo=zjin-lcf/HeCBench kind=compiled arch=gfx1100 opt=O3
	.text
	.amdgcn_target "amdgcn-amd-amdhsa--gfx1100"
	.amdhsa_code_object_version 6
	.protected	_Z19kernel_1024_one_256PKfS0_S0_S0_Pf ; -- Begin function _Z19kernel_1024_one_256PKfS0_S0_S0_Pf
	.globl	_Z19kernel_1024_one_256PKfS0_S0_S0_Pf
	.p2align	8
	.type	_Z19kernel_1024_one_256PKfS0_S0_S0_Pf,@function
_Z19kernel_1024_one_256PKfS0_S0_S0_Pf:  ; @_Z19kernel_1024_one_256PKfS0_S0_S0_Pf
; %bb.0:
	v_and_b32_e32 v9, 0x3ff, v0
	v_bfe_u32 v10, v0, 10, 10
	s_clause 0x1
	s_load_b256 s[4:11], s[0:1], 0x0
	s_load_b64 s[0:1], s[0:1], 0x20
	s_mov_b32 s2, -16
	v_lshl_add_u32 v2, v10, 8, v9
	v_lshlrev_b32_e32 v9, 2, v9
	s_delay_alu instid0(VALU_DEP_2) | instskip(NEXT) | instid1(VALU_DEP_1)
	v_lshl_add_u32 v0, s15, 12, v2
	v_add_nc_u32_e32 v3, 0x400, v0
	v_ashrrev_i32_e32 v1, 31, v0
	v_add_nc_u32_e32 v5, 0x800, v0
	v_add_nc_u32_e32 v7, 0xc00, v0
	s_delay_alu instid0(VALU_DEP_4) | instskip(NEXT) | instid1(VALU_DEP_4)
	v_ashrrev_i32_e32 v4, 31, v3
	v_lshlrev_b64 v[0:1], 2, v[0:1]
	s_delay_alu instid0(VALU_DEP_4) | instskip(NEXT) | instid1(VALU_DEP_4)
	v_ashrrev_i32_e32 v6, 31, v5
	v_ashrrev_i32_e32 v8, 31, v7
	s_delay_alu instid0(VALU_DEP_4) | instskip(NEXT) | instid1(VALU_DEP_3)
	v_lshlrev_b64 v[3:4], 2, v[3:4]
	v_lshlrev_b64 v[5:6], 2, v[5:6]
	s_waitcnt lgkmcnt(0)
	v_add_co_u32 v0, vcc_lo, s4, v0
	v_add_co_ci_u32_e32 v1, vcc_lo, s5, v1, vcc_lo
	v_lshlrev_b64 v[7:8], 2, v[7:8]
	v_add_co_u32 v3, vcc_lo, s4, v3
	v_add_co_ci_u32_e32 v4, vcc_lo, s5, v4, vcc_lo
	v_add_co_u32 v5, vcc_lo, s4, v5
	v_add_co_ci_u32_e32 v6, vcc_lo, s5, v6, vcc_lo
	v_add_co_u32 v7, vcc_lo, s4, v7
	v_add_co_ci_u32_e32 v8, vcc_lo, s5, v8, vcc_lo
	s_clause 0x3
	global_load_b32 v11, v[0:1], off
	global_load_b32 v12, v[3:4], off
	;; [unrolled: 1-line block ×4, first 2 shown]
	s_clause 0x1
	global_load_b32 v14, v9, s[8:9]
	global_load_b32 v15, v9, s[10:11]
	v_add_nc_u32_e32 v3, 0, v9
	v_dual_mov_b32 v9, 0 :: v_dual_lshlrev_b32 v0, 2, v2
	v_lshl_add_u32 v5, v10, 12, 0
	s_delay_alu instid0(VALU_DEP_3) | instskip(NEXT) | instid1(VALU_DEP_3)
	v_add_nc_u32_e32 v6, 0x4000, v3
	v_add_nc_u32_e32 v4, 0, v0
	v_add_co_u32 v0, s3, s6, v0
	s_delay_alu instid0(VALU_DEP_1) | instskip(NEXT) | instid1(VALU_DEP_4)
	v_add_co_ci_u32_e64 v1, null, s7, 0, s3
	v_lshl_add_u32 v7, v10, 10, v6
	s_waitcnt vmcnt(4)
	ds_store_2addr_stride64_b32 v4, v11, v12 offset1:16
	s_waitcnt vmcnt(2)
	ds_store_2addr_stride64_b32 v4, v13, v8 offset0:32 offset1:48
	s_waitcnt vmcnt(0)
	ds_store_2addr_stride64_b32 v3, v14, v15 offset0:144 offset1:148
	ds_store_b32 v4, v9 offset:32768
	s_waitcnt lgkmcnt(0)
	s_barrier
	buffer_gl0_inv
.LBB0_1:                                ; =>This Inner Loop Header: Depth=1
	v_add_co_u32 v8, vcc_lo, v0, 0x2000
	v_add_co_ci_u32_e32 v9, vcc_lo, 0, v1, vcc_lo
	v_add_co_u32 v10, vcc_lo, 0x3000, v0
	v_add_co_ci_u32_e32 v11, vcc_lo, 0, v1, vcc_lo
	s_clause 0x3
	global_load_b32 v12, v[0:1], off
	global_load_b32 v13, v[8:9], off
	global_load_b32 v8, v[8:9], off offset:-4096
	global_load_b32 v9, v[10:11], off
	v_add_co_u32 v0, vcc_lo, 0x4000, v0
	v_add_co_ci_u32_e32 v1, vcc_lo, 0, v1, vcc_lo
	s_add_i32 s2, s2, 16
	s_waitcnt vmcnt(3)
	ds_store_b32 v4, v12 offset:16384
	s_waitcnt vmcnt(1)
	ds_store_2addr_stride64_b32 v7, v8, v13 offset0:16 offset1:32
	s_waitcnt vmcnt(0)
	ds_store_b32 v7, v9 offset:12288
	s_waitcnt lgkmcnt(0)
	s_barrier
	buffer_gl0_inv
	ds_load_b32 v10, v5
	ds_load_2addr_stride64_b32 v[8:9], v6 offset1:4
	ds_load_b32 v12, v4 offset:32768
	ds_load_b32 v13, v6 offset:12288
	s_cmpk_gt_u32 s2, 0x3ef
	s_waitcnt lgkmcnt(1)
	v_fmac_f32_e32 v12, v10, v8
	ds_store_b32 v4, v12 offset:32768
	ds_load_b32 v8, v5 offset:4
	ds_load_2addr_stride64_b32 v[10:11], v6 offset0:8 offset1:12
	s_waitcnt lgkmcnt(1)
	v_fmac_f32_e32 v12, v8, v9
	ds_store_b32 v4, v12 offset:32768
	ds_load_b32 v8, v5 offset:8
	s_waitcnt lgkmcnt(0)
	v_fmac_f32_e32 v12, v8, v10
	ds_store_b32 v4, v12 offset:32768
	ds_load_b32 v10, v5 offset:12
	ds_load_2addr_stride64_b32 v[8:9], v6 offset0:16 offset1:20
	s_waitcnt lgkmcnt(1)
	v_fmac_f32_e32 v12, v10, v11
	ds_store_b32 v4, v12 offset:32768
	ds_load_b32 v10, v5 offset:16
	;; [unrolled: 9-line block ×5, first 2 shown]
	s_waitcnt lgkmcnt(0)
	v_fmac_f32_e32 v12, v8, v10
	ds_store_b32 v4, v12 offset:32768
	ds_load_b32 v8, v5 offset:44
	s_waitcnt lgkmcnt(0)
	v_fmac_f32_e32 v12, v8, v11
	ds_store_b32 v4, v12 offset:32768
	ds_load_b32 v8, v5 offset:48
	;; [unrolled: 4-line block ×3, first 2 shown]
	ds_load_b32 v9, v6 offset:13312
	s_waitcnt lgkmcnt(0)
	v_fmac_f32_e32 v12, v8, v9
	ds_store_b32 v4, v12 offset:32768
	ds_load_b32 v8, v5 offset:56
	ds_load_b32 v9, v6 offset:14336
	s_waitcnt lgkmcnt(0)
	v_fmac_f32_e32 v12, v8, v9
	ds_store_b32 v4, v12 offset:32768
	ds_load_b32 v8, v5 offset:60
	ds_load_b32 v9, v6 offset:15360
	v_add_nc_u32_e32 v5, 64, v5
	s_waitcnt lgkmcnt(0)
	v_fmac_f32_e32 v12, v8, v9
	ds_store_b32 v4, v12 offset:32768
	s_waitcnt lgkmcnt(0)
	s_barrier
	buffer_gl0_inv
	s_cbranch_scc0 .LBB0_1
; %bb.2:
	ds_load_2addr_stride64_b32 v[0:1], v3 offset0:144 offset1:148
	ds_load_b32 v3, v4 offset:32768
	s_lshl_b32 s2, s15, 10
	s_delay_alu instid0(SALU_CYCLE_1) | instskip(NEXT) | instid1(SALU_CYCLE_1)
	s_ashr_i32 s3, s2, 31
	s_lshl_b64 s[2:3], s[2:3], 2
	s_delay_alu instid0(SALU_CYCLE_1) | instskip(SKIP_3) | instid1(VALU_DEP_1)
	s_add_u32 s0, s0, s2
	s_addc_u32 s1, s1, s3
	s_waitcnt lgkmcnt(0)
	v_dual_fmac_f32 v0, v1, v3 :: v_dual_lshlrev_b32 v1, 2, v2
	v_max_f32_e32 v0, 0, v0
	global_store_b32 v1, v0, s[0:1]
	s_nop 0
	s_sendmsg sendmsg(MSG_DEALLOC_VGPRS)
	s_endpgm
	.section	.rodata,"a",@progbits
	.p2align	6, 0x0
	.amdhsa_kernel _Z19kernel_1024_one_256PKfS0_S0_S0_Pf
		.amdhsa_group_segment_fixed_size 0
		.amdhsa_private_segment_fixed_size 0
		.amdhsa_kernarg_size 40
		.amdhsa_user_sgpr_count 15
		.amdhsa_user_sgpr_dispatch_ptr 0
		.amdhsa_user_sgpr_queue_ptr 0
		.amdhsa_user_sgpr_kernarg_segment_ptr 1
		.amdhsa_user_sgpr_dispatch_id 0
		.amdhsa_user_sgpr_private_segment_size 0
		.amdhsa_wavefront_size32 1
		.amdhsa_uses_dynamic_stack 0
		.amdhsa_enable_private_segment 0
		.amdhsa_system_sgpr_workgroup_id_x 1
		.amdhsa_system_sgpr_workgroup_id_y 0
		.amdhsa_system_sgpr_workgroup_id_z 0
		.amdhsa_system_sgpr_workgroup_info 0
		.amdhsa_system_vgpr_workitem_id 1
		.amdhsa_next_free_vgpr 16
		.amdhsa_next_free_sgpr 16
		.amdhsa_reserve_vcc 1
		.amdhsa_float_round_mode_32 0
		.amdhsa_float_round_mode_16_64 0
		.amdhsa_float_denorm_mode_32 3
		.amdhsa_float_denorm_mode_16_64 3
		.amdhsa_dx10_clamp 1
		.amdhsa_ieee_mode 1
		.amdhsa_fp16_overflow 0
		.amdhsa_workgroup_processor_mode 1
		.amdhsa_memory_ordered 1
		.amdhsa_forward_progress 0
		.amdhsa_shared_vgpr_count 0
		.amdhsa_exception_fp_ieee_invalid_op 0
		.amdhsa_exception_fp_denorm_src 0
		.amdhsa_exception_fp_ieee_div_zero 0
		.amdhsa_exception_fp_ieee_overflow 0
		.amdhsa_exception_fp_ieee_underflow 0
		.amdhsa_exception_fp_ieee_inexact 0
		.amdhsa_exception_int_div_zero 0
	.end_amdhsa_kernel
	.text
.Lfunc_end0:
	.size	_Z19kernel_1024_one_256PKfS0_S0_S0_Pf, .Lfunc_end0-_Z19kernel_1024_one_256PKfS0_S0_S0_Pf
                                        ; -- End function
	.section	.AMDGPU.csdata,"",@progbits
; Kernel info:
; codeLenInByte = 1100
; NumSgprs: 18
; NumVgprs: 16
; ScratchSize: 0
; MemoryBound: 0
; FloatMode: 240
; IeeeMode: 1
; LDSByteSize: 0 bytes/workgroup (compile time only)
; SGPRBlocks: 2
; VGPRBlocks: 1
; NumSGPRsForWavesPerEU: 18
; NumVGPRsForWavesPerEU: 16
; Occupancy: 16
; WaveLimiterHint : 1
; COMPUTE_PGM_RSRC2:SCRATCH_EN: 0
; COMPUTE_PGM_RSRC2:USER_SGPR: 15
; COMPUTE_PGM_RSRC2:TRAP_HANDLER: 0
; COMPUTE_PGM_RSRC2:TGID_X_EN: 1
; COMPUTE_PGM_RSRC2:TGID_Y_EN: 0
; COMPUTE_PGM_RSRC2:TGID_Z_EN: 0
; COMPUTE_PGM_RSRC2:TIDIG_COMP_CNT: 1
	.text
	.protected	_Z19kernel_256_one_1024PKfS0_S0_S0_Pf ; -- Begin function _Z19kernel_256_one_1024PKfS0_S0_S0_Pf
	.globl	_Z19kernel_256_one_1024PKfS0_S0_S0_Pf
	.p2align	8
	.type	_Z19kernel_256_one_1024PKfS0_S0_S0_Pf,@function
_Z19kernel_256_one_1024PKfS0_S0_S0_Pf:  ; @_Z19kernel_256_one_1024PKfS0_S0_S0_Pf
; %bb.0:
	v_and_b32_e32 v2, 0x3ff, v0
	v_bfe_u32 v9, v0, 10, 10
	s_load_b256 s[4:11], s[0:1], 0x0
	s_lshl_b32 s2, s15, 8
	s_load_b64 s[0:1], s[0:1], 0x20
	v_add_nc_u32_e32 v0, s2, v2
	v_lshl_add_u32 v10, v9, 8, v2
	s_mov_b32 s3, 0
	s_delay_alu instid0(VALU_DEP_2) | instskip(NEXT) | instid1(VALU_DEP_2)
	v_ashrrev_i32_e32 v1, 31, v0
	v_lshl_add_u32 v3, s14, 10, v10
	s_delay_alu instid0(VALU_DEP_2) | instskip(NEXT) | instid1(VALU_DEP_2)
	v_lshlrev_b64 v[5:6], 2, v[0:1]
	v_ashrrev_i32_e32 v4, 31, v3
	v_lshl_add_u32 v1, v10, 2, 0
	s_delay_alu instid0(VALU_DEP_2) | instskip(SKIP_1) | instid1(VALU_DEP_4)
	v_lshlrev_b64 v[3:4], 2, v[3:4]
	s_waitcnt lgkmcnt(0)
	v_add_co_u32 v7, vcc_lo, s8, v5
	v_add_co_ci_u32_e32 v8, vcc_lo, s9, v6, vcc_lo
	s_delay_alu instid0(VALU_DEP_3) | instskip(NEXT) | instid1(VALU_DEP_4)
	v_add_co_u32 v3, vcc_lo, s4, v3
	v_add_co_ci_u32_e32 v4, vcc_lo, s5, v4, vcc_lo
	v_add_co_u32 v5, vcc_lo, s10, v5
	v_add_co_ci_u32_e32 v6, vcc_lo, s11, v6, vcc_lo
	global_load_b32 v7, v[7:8], off
	global_load_b32 v8, v[3:4], off
	;; [unrolled: 1-line block ×3, first 2 shown]
	v_lshl_add_u32 v3, v2, 2, 0
	v_lshlrev_b32_e32 v4, 10, v9
	v_mov_b32_e32 v6, 0
	s_movk_i32 s4, 0xffe0
	s_waitcnt vmcnt(1)
	ds_store_b32 v1, v8
	s_waitcnt vmcnt(0)
	ds_store_2addr_stride64_b32 v3, v7, v5 offset0:160 offset1:164
	ds_store_b32 v1, v6 offset:36864
	s_waitcnt lgkmcnt(0)
	s_barrier
	buffer_gl0_inv
.LBB1_1:                                ; =>This Inner Loop Header: Depth=1
	v_add_nc_u32_e32 v5, v4, v0
	s_add_i32 s4, s4, 32
	v_add_nc_u32_e32 v0, 0x8000, v0
	s_delay_alu instid0(VALU_DEP_2)
	v_add_nc_u32_e32 v7, 0x1000, v5
	v_ashrrev_i32_e32 v6, 31, v5
	v_add_nc_u32_e32 v9, 0x2000, v5
	v_add_nc_u32_e32 v11, 0x3000, v5
	;; [unrolled: 1-line block ×3, first 2 shown]
	v_ashrrev_i32_e32 v8, 31, v7
	v_add_nc_u32_e32 v15, 0x5000, v5
	v_add_nc_u32_e32 v17, 0x6000, v5
	;; [unrolled: 1-line block ×3, first 2 shown]
	v_lshlrev_b64 v[5:6], 2, v[5:6]
	v_ashrrev_i32_e32 v10, 31, v9
	v_lshlrev_b64 v[7:8], 2, v[7:8]
	v_ashrrev_i32_e32 v12, 31, v11
	v_ashrrev_i32_e32 v14, 31, v13
	v_ashrrev_i32_e32 v16, 31, v15
	v_lshlrev_b64 v[9:10], 2, v[9:10]
	v_add_co_u32 v5, vcc_lo, s6, v5
	v_add_co_ci_u32_e32 v6, vcc_lo, s7, v6, vcc_lo
	v_lshlrev_b64 v[11:12], 2, v[11:12]
	v_add_co_u32 v7, vcc_lo, s6, v7
	v_add_co_ci_u32_e32 v8, vcc_lo, s7, v8, vcc_lo
	v_lshlrev_b64 v[13:14], 2, v[13:14]
	v_add_co_u32 v9, vcc_lo, s6, v9
	v_ashrrev_i32_e32 v18, 31, v17
	v_add_co_ci_u32_e32 v10, vcc_lo, s7, v10, vcc_lo
	v_lshlrev_b64 v[15:16], 2, v[15:16]
	v_add_co_u32 v11, vcc_lo, s6, v11
	v_ashrrev_i32_e32 v20, 31, v19
	v_add_co_ci_u32_e32 v12, vcc_lo, s7, v12, vcc_lo
	v_lshlrev_b64 v[17:18], 2, v[17:18]
	v_add_co_u32 v13, vcc_lo, s6, v13
	v_add_co_ci_u32_e32 v14, vcc_lo, s7, v14, vcc_lo
	v_lshlrev_b64 v[19:20], 2, v[19:20]
	v_add_co_u32 v15, vcc_lo, s6, v15
	v_add_co_ci_u32_e32 v16, vcc_lo, s7, v16, vcc_lo
	v_add_co_u32 v17, vcc_lo, s6, v17
	v_add_co_ci_u32_e32 v18, vcc_lo, s7, v18, vcc_lo
	;; [unrolled: 2-line block ×3, first 2 shown]
	s_clause 0x7
	global_load_b32 v5, v[5:6], off
	global_load_b32 v6, v[7:8], off
	;; [unrolled: 1-line block ×8, first 2 shown]
	v_add_nc_u32_e32 v13, s3, v4
	s_waitcnt vmcnt(6)
	ds_store_2addr_stride64_b32 v1, v5, v6 offset0:16 offset1:32
	s_waitcnt vmcnt(4)
	ds_store_2addr_stride64_b32 v1, v7, v8 offset0:48 offset1:64
	;; [unrolled: 2-line block ×4, first 2 shown]
	s_waitcnt lgkmcnt(0)
	s_barrier
	buffer_gl0_inv
	ds_load_b32 v7, v13
	ds_load_2addr_stride64_b32 v[5:6], v3 offset0:16 offset1:20
	ds_load_b32 v9, v1 offset:36864
	ds_load_b32 v10, v3 offset:32768
	s_addk_i32 s3, 0x80
	s_cmpk_lt_u32 s4, 0xe0
	s_waitcnt lgkmcnt(1)
	v_fmac_f32_e32 v9, v7, v5
	ds_store_b32 v1, v9 offset:36864
	ds_load_b32 v5, v13 offset:4
	ds_load_2addr_stride64_b32 v[7:8], v3 offset0:24 offset1:28
	s_waitcnt lgkmcnt(1)
	v_fmac_f32_e32 v9, v5, v6
	ds_store_b32 v1, v9 offset:36864
	ds_load_b32 v5, v13 offset:8
	s_waitcnt lgkmcnt(0)
	v_fmac_f32_e32 v9, v5, v7
	ds_store_b32 v1, v9 offset:36864
	ds_load_b32 v7, v13 offset:12
	ds_load_2addr_stride64_b32 v[5:6], v3 offset0:32 offset1:36
	s_waitcnt lgkmcnt(1)
	v_fmac_f32_e32 v9, v7, v8
	ds_store_b32 v1, v9 offset:36864
	ds_load_b32 v7, v13 offset:16
	;; [unrolled: 9-line block ×13, first 2 shown]
	s_waitcnt lgkmcnt(0)
	v_fmac_f32_e32 v9, v5, v7
	ds_store_b32 v1, v9 offset:36864
	ds_load_b32 v5, v13 offset:108
	s_waitcnt lgkmcnt(0)
	v_fmac_f32_e32 v9, v5, v8
	ds_store_b32 v1, v9 offset:36864
	ds_load_b32 v5, v13 offset:112
	;; [unrolled: 4-line block ×3, first 2 shown]
	ds_load_b32 v6, v3 offset:33792
	s_waitcnt lgkmcnt(0)
	v_fmac_f32_e32 v9, v5, v6
	ds_store_b32 v1, v9 offset:36864
	ds_load_b32 v5, v13 offset:120
	ds_load_b32 v6, v3 offset:34816
	s_waitcnt lgkmcnt(0)
	v_fmac_f32_e32 v9, v5, v6
	ds_store_b32 v1, v9 offset:36864
	ds_load_b32 v5, v13 offset:124
	ds_load_b32 v6, v3 offset:35840
	s_waitcnt lgkmcnt(0)
	v_fmac_f32_e32 v9, v5, v6
	ds_store_b32 v1, v9 offset:36864
	s_waitcnt lgkmcnt(0)
	s_barrier
	buffer_gl0_inv
	s_cbranch_scc1 .LBB1_1
; %bb.2:
	ds_load_2addr_stride64_b32 v[5:6], v3 offset0:160 offset1:164
	ds_load_b32 v0, v1 offset:36864
	s_lshl_b32 s4, s14, 12
	v_or_b32_e32 v1, v4, v2
	s_ashr_i32 s5, s4, 31
	s_delay_alu instid0(SALU_CYCLE_1) | instskip(NEXT) | instid1(SALU_CYCLE_1)
	s_lshl_b64 s[4:5], s[4:5], 2
	s_add_u32 s4, s0, s4
	s_addc_u32 s5, s1, s5
	s_ashr_i32 s3, s2, 31
	s_delay_alu instid0(SALU_CYCLE_1) | instskip(NEXT) | instid1(SALU_CYCLE_1)
	s_lshl_b64 s[0:1], s[2:3], 2
	s_add_u32 s0, s4, s0
	s_addc_u32 s1, s5, s1
	s_waitcnt lgkmcnt(0)
	v_dual_fmac_f32 v5, v6, v0 :: v_dual_lshlrev_b32 v0, 2, v1
	global_store_b32 v0, v5, s[0:1]
	s_nop 0
	s_sendmsg sendmsg(MSG_DEALLOC_VGPRS)
	s_endpgm
	.section	.rodata,"a",@progbits
	.p2align	6, 0x0
	.amdhsa_kernel _Z19kernel_256_one_1024PKfS0_S0_S0_Pf
		.amdhsa_group_segment_fixed_size 0
		.amdhsa_private_segment_fixed_size 0
		.amdhsa_kernarg_size 40
		.amdhsa_user_sgpr_count 14
		.amdhsa_user_sgpr_dispatch_ptr 0
		.amdhsa_user_sgpr_queue_ptr 0
		.amdhsa_user_sgpr_kernarg_segment_ptr 1
		.amdhsa_user_sgpr_dispatch_id 0
		.amdhsa_user_sgpr_private_segment_size 0
		.amdhsa_wavefront_size32 1
		.amdhsa_uses_dynamic_stack 0
		.amdhsa_enable_private_segment 0
		.amdhsa_system_sgpr_workgroup_id_x 1
		.amdhsa_system_sgpr_workgroup_id_y 1
		.amdhsa_system_sgpr_workgroup_id_z 0
		.amdhsa_system_sgpr_workgroup_info 0
		.amdhsa_system_vgpr_workitem_id 1
		.amdhsa_next_free_vgpr 21
		.amdhsa_next_free_sgpr 16
		.amdhsa_reserve_vcc 1
		.amdhsa_float_round_mode_32 0
		.amdhsa_float_round_mode_16_64 0
		.amdhsa_float_denorm_mode_32 3
		.amdhsa_float_denorm_mode_16_64 3
		.amdhsa_dx10_clamp 1
		.amdhsa_ieee_mode 1
		.amdhsa_fp16_overflow 0
		.amdhsa_workgroup_processor_mode 1
		.amdhsa_memory_ordered 1
		.amdhsa_forward_progress 0
		.amdhsa_shared_vgpr_count 0
		.amdhsa_exception_fp_ieee_invalid_op 0
		.amdhsa_exception_fp_denorm_src 0
		.amdhsa_exception_fp_ieee_div_zero 0
		.amdhsa_exception_fp_ieee_overflow 0
		.amdhsa_exception_fp_ieee_underflow 0
		.amdhsa_exception_fp_ieee_inexact 0
		.amdhsa_exception_int_div_zero 0
	.end_amdhsa_kernel
	.text
.Lfunc_end1:
	.size	_Z19kernel_256_one_1024PKfS0_S0_S0_Pf, .Lfunc_end1-_Z19kernel_256_one_1024PKfS0_S0_S0_Pf
                                        ; -- End function
	.section	.AMDGPU.csdata,"",@progbits
; Kernel info:
; codeLenInByte = 1688
; NumSgprs: 18
; NumVgprs: 21
; ScratchSize: 0
; MemoryBound: 1
; FloatMode: 240
; IeeeMode: 1
; LDSByteSize: 0 bytes/workgroup (compile time only)
; SGPRBlocks: 2
; VGPRBlocks: 2
; NumSGPRsForWavesPerEU: 18
; NumVGPRsForWavesPerEU: 21
; Occupancy: 16
; WaveLimiterHint : 1
; COMPUTE_PGM_RSRC2:SCRATCH_EN: 0
; COMPUTE_PGM_RSRC2:USER_SGPR: 14
; COMPUTE_PGM_RSRC2:TRAP_HANDLER: 0
; COMPUTE_PGM_RSRC2:TGID_X_EN: 1
; COMPUTE_PGM_RSRC2:TGID_Y_EN: 1
; COMPUTE_PGM_RSRC2:TGID_Z_EN: 0
; COMPUTE_PGM_RSRC2:TIDIG_COMP_CNT: 1
	.text
	.p2alignl 7, 3214868480
	.fill 96, 4, 3214868480
	.type	__hip_cuid_987058ef9b662342,@object ; @__hip_cuid_987058ef9b662342
	.section	.bss,"aw",@nobits
	.globl	__hip_cuid_987058ef9b662342
__hip_cuid_987058ef9b662342:
	.byte	0                               ; 0x0
	.size	__hip_cuid_987058ef9b662342, 1

	.ident	"AMD clang version 19.0.0git (https://github.com/RadeonOpenCompute/llvm-project roc-6.4.0 25133 c7fe45cf4b819c5991fe208aaa96edf142730f1d)"
	.section	".note.GNU-stack","",@progbits
	.addrsig
	.addrsig_sym __hip_cuid_987058ef9b662342
	.amdgpu_metadata
---
amdhsa.kernels:
  - .args:
      - .actual_access:  read_only
        .address_space:  global
        .offset:         0
        .size:           8
        .value_kind:     global_buffer
      - .actual_access:  read_only
        .address_space:  global
        .offset:         8
        .size:           8
        .value_kind:     global_buffer
      - .actual_access:  read_only
        .address_space:  global
        .offset:         16
        .size:           8
        .value_kind:     global_buffer
      - .actual_access:  read_only
        .address_space:  global
        .offset:         24
        .size:           8
        .value_kind:     global_buffer
      - .actual_access:  write_only
        .address_space:  global
        .offset:         32
        .size:           8
        .value_kind:     global_buffer
    .group_segment_fixed_size: 0
    .kernarg_segment_align: 8
    .kernarg_segment_size: 40
    .language:       OpenCL C
    .language_version:
      - 2
      - 0
    .max_flat_workgroup_size: 1024
    .name:           _Z19kernel_1024_one_256PKfS0_S0_S0_Pf
    .private_segment_fixed_size: 0
    .sgpr_count:     18
    .sgpr_spill_count: 0
    .symbol:         _Z19kernel_1024_one_256PKfS0_S0_S0_Pf.kd
    .uniform_work_group_size: 1
    .uses_dynamic_stack: false
    .vgpr_count:     16
    .vgpr_spill_count: 0
    .wavefront_size: 32
    .workgroup_processor_mode: 1
  - .args:
      - .actual_access:  read_only
        .address_space:  global
        .offset:         0
        .size:           8
        .value_kind:     global_buffer
      - .actual_access:  read_only
        .address_space:  global
        .offset:         8
        .size:           8
        .value_kind:     global_buffer
      - .actual_access:  read_only
        .address_space:  global
        .offset:         16
        .size:           8
        .value_kind:     global_buffer
      - .actual_access:  read_only
        .address_space:  global
        .offset:         24
        .size:           8
        .value_kind:     global_buffer
      - .actual_access:  write_only
        .address_space:  global
        .offset:         32
        .size:           8
        .value_kind:     global_buffer
    .group_segment_fixed_size: 0
    .kernarg_segment_align: 8
    .kernarg_segment_size: 40
    .language:       OpenCL C
    .language_version:
      - 2
      - 0
    .max_flat_workgroup_size: 1024
    .name:           _Z19kernel_256_one_1024PKfS0_S0_S0_Pf
    .private_segment_fixed_size: 0
    .sgpr_count:     18
    .sgpr_spill_count: 0
    .symbol:         _Z19kernel_256_one_1024PKfS0_S0_S0_Pf.kd
    .uniform_work_group_size: 1
    .uses_dynamic_stack: false
    .vgpr_count:     21
    .vgpr_spill_count: 0
    .wavefront_size: 32
    .workgroup_processor_mode: 1
amdhsa.target:   amdgcn-amd-amdhsa--gfx1100
amdhsa.version:
  - 1
  - 2
...

	.end_amdgpu_metadata
